;; amdgpu-corpus repo=ROCm/rocFFT kind=compiled arch=gfx1030 opt=O3
	.text
	.amdgcn_target "amdgcn-amd-amdhsa--gfx1030"
	.amdhsa_code_object_version 6
	.protected	fft_rtc_back_len1386_factors_2_7_3_11_3_wgs_231_tpt_231_halfLds_half_ip_CI_unitstride_sbrr_dirReg ; -- Begin function fft_rtc_back_len1386_factors_2_7_3_11_3_wgs_231_tpt_231_halfLds_half_ip_CI_unitstride_sbrr_dirReg
	.globl	fft_rtc_back_len1386_factors_2_7_3_11_3_wgs_231_tpt_231_halfLds_half_ip_CI_unitstride_sbrr_dirReg
	.p2align	8
	.type	fft_rtc_back_len1386_factors_2_7_3_11_3_wgs_231_tpt_231_halfLds_half_ip_CI_unitstride_sbrr_dirReg,@function
fft_rtc_back_len1386_factors_2_7_3_11_3_wgs_231_tpt_231_halfLds_half_ip_CI_unitstride_sbrr_dirReg: ; @fft_rtc_back_len1386_factors_2_7_3_11_3_wgs_231_tpt_231_halfLds_half_ip_CI_unitstride_sbrr_dirReg
; %bb.0:
	s_clause 0x2
	s_load_dwordx4 s[8:11], s[4:5], 0x0
	s_load_dwordx2 s[2:3], s[4:5], 0x50
	s_load_dwordx2 s[12:13], s[4:5], 0x18
	v_mul_u32_u24_e32 v1, 0x11c, v0
	v_mov_b32_e32 v3, 0
	v_add_nc_u32_sdwa v5, s6, v1 dst_sel:DWORD dst_unused:UNUSED_PAD src0_sel:DWORD src1_sel:WORD_1
	v_mov_b32_e32 v1, 0
	v_mov_b32_e32 v6, v3
	v_mov_b32_e32 v2, 0
	s_waitcnt lgkmcnt(0)
	v_cmp_lt_u64_e64 s0, s[10:11], 2
	s_and_b32 vcc_lo, exec_lo, s0
	s_cbranch_vccnz .LBB0_8
; %bb.1:
	s_load_dwordx2 s[0:1], s[4:5], 0x10
	v_mov_b32_e32 v1, 0
	s_add_u32 s6, s12, 8
	v_mov_b32_e32 v2, 0
	s_addc_u32 s7, s13, 0
	s_mov_b64 s[16:17], 1
	s_waitcnt lgkmcnt(0)
	s_add_u32 s14, s0, 8
	s_addc_u32 s15, s1, 0
.LBB0_2:                                ; =>This Inner Loop Header: Depth=1
	s_load_dwordx2 s[18:19], s[14:15], 0x0
                                        ; implicit-def: $vgpr7_vgpr8
	s_mov_b32 s0, exec_lo
	s_waitcnt lgkmcnt(0)
	v_or_b32_e32 v4, s19, v6
	v_cmpx_ne_u64_e32 0, v[3:4]
	s_xor_b32 s1, exec_lo, s0
	s_cbranch_execz .LBB0_4
; %bb.3:                                ;   in Loop: Header=BB0_2 Depth=1
	v_cvt_f32_u32_e32 v4, s18
	v_cvt_f32_u32_e32 v7, s19
	s_sub_u32 s0, 0, s18
	s_subb_u32 s20, 0, s19
	v_fmac_f32_e32 v4, 0x4f800000, v7
	v_rcp_f32_e32 v4, v4
	v_mul_f32_e32 v4, 0x5f7ffffc, v4
	v_mul_f32_e32 v7, 0x2f800000, v4
	v_trunc_f32_e32 v7, v7
	v_fmac_f32_e32 v4, 0xcf800000, v7
	v_cvt_u32_f32_e32 v7, v7
	v_cvt_u32_f32_e32 v4, v4
	v_mul_lo_u32 v8, s0, v7
	v_mul_hi_u32 v9, s0, v4
	v_mul_lo_u32 v10, s20, v4
	v_add_nc_u32_e32 v8, v9, v8
	v_mul_lo_u32 v9, s0, v4
	v_add_nc_u32_e32 v8, v8, v10
	v_mul_hi_u32 v10, v4, v9
	v_mul_lo_u32 v11, v4, v8
	v_mul_hi_u32 v12, v4, v8
	v_mul_hi_u32 v13, v7, v9
	v_mul_lo_u32 v9, v7, v9
	v_mul_hi_u32 v14, v7, v8
	v_mul_lo_u32 v8, v7, v8
	v_add_co_u32 v10, vcc_lo, v10, v11
	v_add_co_ci_u32_e32 v11, vcc_lo, 0, v12, vcc_lo
	v_add_co_u32 v9, vcc_lo, v10, v9
	v_add_co_ci_u32_e32 v9, vcc_lo, v11, v13, vcc_lo
	v_add_co_ci_u32_e32 v10, vcc_lo, 0, v14, vcc_lo
	v_add_co_u32 v8, vcc_lo, v9, v8
	v_add_co_ci_u32_e32 v9, vcc_lo, 0, v10, vcc_lo
	v_add_co_u32 v4, vcc_lo, v4, v8
	v_add_co_ci_u32_e32 v7, vcc_lo, v7, v9, vcc_lo
	v_mul_hi_u32 v8, s0, v4
	v_mul_lo_u32 v10, s20, v4
	v_mul_lo_u32 v9, s0, v7
	v_add_nc_u32_e32 v8, v8, v9
	v_mul_lo_u32 v9, s0, v4
	v_add_nc_u32_e32 v8, v8, v10
	v_mul_hi_u32 v10, v4, v9
	v_mul_lo_u32 v11, v4, v8
	v_mul_hi_u32 v12, v4, v8
	v_mul_hi_u32 v13, v7, v9
	v_mul_lo_u32 v9, v7, v9
	v_mul_hi_u32 v14, v7, v8
	v_mul_lo_u32 v8, v7, v8
	v_add_co_u32 v10, vcc_lo, v10, v11
	v_add_co_ci_u32_e32 v11, vcc_lo, 0, v12, vcc_lo
	v_add_co_u32 v9, vcc_lo, v10, v9
	v_add_co_ci_u32_e32 v9, vcc_lo, v11, v13, vcc_lo
	v_add_co_ci_u32_e32 v10, vcc_lo, 0, v14, vcc_lo
	v_add_co_u32 v8, vcc_lo, v9, v8
	v_add_co_ci_u32_e32 v9, vcc_lo, 0, v10, vcc_lo
	v_add_co_u32 v4, vcc_lo, v4, v8
	v_add_co_ci_u32_e32 v11, vcc_lo, v7, v9, vcc_lo
	v_mul_hi_u32 v13, v5, v4
	v_mad_u64_u32 v[9:10], null, v6, v4, 0
	v_mad_u64_u32 v[7:8], null, v5, v11, 0
	;; [unrolled: 1-line block ×3, first 2 shown]
	v_add_co_u32 v4, vcc_lo, v13, v7
	v_add_co_ci_u32_e32 v7, vcc_lo, 0, v8, vcc_lo
	v_add_co_u32 v4, vcc_lo, v4, v9
	v_add_co_ci_u32_e32 v4, vcc_lo, v7, v10, vcc_lo
	v_add_co_ci_u32_e32 v7, vcc_lo, 0, v12, vcc_lo
	v_add_co_u32 v4, vcc_lo, v4, v11
	v_add_co_ci_u32_e32 v9, vcc_lo, 0, v7, vcc_lo
	v_mul_lo_u32 v10, s19, v4
	v_mad_u64_u32 v[7:8], null, s18, v4, 0
	v_mul_lo_u32 v11, s18, v9
	v_sub_co_u32 v7, vcc_lo, v5, v7
	v_add3_u32 v8, v8, v11, v10
	v_sub_nc_u32_e32 v10, v6, v8
	v_subrev_co_ci_u32_e64 v10, s0, s19, v10, vcc_lo
	v_add_co_u32 v11, s0, v4, 2
	v_add_co_ci_u32_e64 v12, s0, 0, v9, s0
	v_sub_co_u32 v13, s0, v7, s18
	v_sub_co_ci_u32_e32 v8, vcc_lo, v6, v8, vcc_lo
	v_subrev_co_ci_u32_e64 v10, s0, 0, v10, s0
	v_cmp_le_u32_e32 vcc_lo, s18, v13
	v_cmp_eq_u32_e64 s0, s19, v8
	v_cndmask_b32_e64 v13, 0, -1, vcc_lo
	v_cmp_le_u32_e32 vcc_lo, s19, v10
	v_cndmask_b32_e64 v14, 0, -1, vcc_lo
	v_cmp_le_u32_e32 vcc_lo, s18, v7
	;; [unrolled: 2-line block ×3, first 2 shown]
	v_cndmask_b32_e64 v15, 0, -1, vcc_lo
	v_cmp_eq_u32_e32 vcc_lo, s19, v10
	v_cndmask_b32_e64 v7, v15, v7, s0
	v_cndmask_b32_e32 v10, v14, v13, vcc_lo
	v_add_co_u32 v13, vcc_lo, v4, 1
	v_add_co_ci_u32_e32 v14, vcc_lo, 0, v9, vcc_lo
	v_cmp_ne_u32_e32 vcc_lo, 0, v10
	v_cndmask_b32_e32 v8, v14, v12, vcc_lo
	v_cndmask_b32_e32 v10, v13, v11, vcc_lo
	v_cmp_ne_u32_e32 vcc_lo, 0, v7
	v_cndmask_b32_e32 v8, v9, v8, vcc_lo
	v_cndmask_b32_e32 v7, v4, v10, vcc_lo
.LBB0_4:                                ;   in Loop: Header=BB0_2 Depth=1
	s_andn2_saveexec_b32 s0, s1
	s_cbranch_execz .LBB0_6
; %bb.5:                                ;   in Loop: Header=BB0_2 Depth=1
	v_cvt_f32_u32_e32 v4, s18
	s_sub_i32 s1, 0, s18
	v_rcp_iflag_f32_e32 v4, v4
	v_mul_f32_e32 v4, 0x4f7ffffe, v4
	v_cvt_u32_f32_e32 v4, v4
	v_mul_lo_u32 v7, s1, v4
	v_mul_hi_u32 v7, v4, v7
	v_add_nc_u32_e32 v4, v4, v7
	v_mul_hi_u32 v4, v5, v4
	v_mul_lo_u32 v7, v4, s18
	v_add_nc_u32_e32 v8, 1, v4
	v_sub_nc_u32_e32 v7, v5, v7
	v_subrev_nc_u32_e32 v9, s18, v7
	v_cmp_le_u32_e32 vcc_lo, s18, v7
	v_cndmask_b32_e32 v7, v7, v9, vcc_lo
	v_cndmask_b32_e32 v4, v4, v8, vcc_lo
	v_cmp_le_u32_e32 vcc_lo, s18, v7
	v_add_nc_u32_e32 v8, 1, v4
	v_cndmask_b32_e32 v7, v4, v8, vcc_lo
	v_mov_b32_e32 v8, v3
.LBB0_6:                                ;   in Loop: Header=BB0_2 Depth=1
	s_or_b32 exec_lo, exec_lo, s0
	s_load_dwordx2 s[0:1], s[6:7], 0x0
	v_mul_lo_u32 v4, v8, s18
	v_mul_lo_u32 v11, v7, s19
	v_mad_u64_u32 v[9:10], null, v7, s18, 0
	s_add_u32 s16, s16, 1
	s_addc_u32 s17, s17, 0
	s_add_u32 s6, s6, 8
	s_addc_u32 s7, s7, 0
	;; [unrolled: 2-line block ×3, first 2 shown]
	v_add3_u32 v4, v10, v11, v4
	v_sub_co_u32 v5, vcc_lo, v5, v9
	v_sub_co_ci_u32_e32 v4, vcc_lo, v6, v4, vcc_lo
	s_waitcnt lgkmcnt(0)
	v_mul_lo_u32 v6, s1, v5
	v_mul_lo_u32 v4, s0, v4
	v_mad_u64_u32 v[1:2], null, s0, v5, v[1:2]
	v_cmp_ge_u64_e64 s0, s[16:17], s[10:11]
	s_and_b32 vcc_lo, exec_lo, s0
	v_add3_u32 v2, v6, v2, v4
	s_cbranch_vccnz .LBB0_9
; %bb.7:                                ;   in Loop: Header=BB0_2 Depth=1
	v_mov_b32_e32 v5, v7
	v_mov_b32_e32 v6, v8
	s_branch .LBB0_2
.LBB0_8:
	v_mov_b32_e32 v8, v6
	v_mov_b32_e32 v7, v5
.LBB0_9:
	s_lshl_b64 s[0:1], s[10:11], 3
	v_mul_hi_u32 v3, 0x11bb4a5, v0
	s_add_u32 s0, s12, s0
	s_addc_u32 s1, s13, s1
	v_mov_b32_e32 v15, 0
	s_load_dwordx2 s[0:1], s[0:1], 0x0
	s_load_dwordx2 s[4:5], s[4:5], 0x20
                                        ; implicit-def: $vgpr14
                                        ; implicit-def: $vgpr16
                                        ; implicit-def: $vgpr17
	s_waitcnt lgkmcnt(0)
	v_mul_lo_u32 v4, s0, v8
	v_mul_lo_u32 v9, s1, v7
	v_mad_u64_u32 v[5:6], null, s0, v7, v[1:2]
	v_mul_u32_u24_e32 v1, 0xe7, v3
	v_cmp_gt_u64_e32 vcc_lo, s[4:5], v[7:8]
	v_mov_b32_e32 v7, 0
                                        ; implicit-def: $vgpr3
	v_sub_nc_u32_e32 v2, v0, v1
	v_add3_u32 v6, v9, v6, v4
	v_mov_b32_e32 v4, 0
	v_lshlrev_b64 v[0:1], 2, v[5:6]
                                        ; implicit-def: $vgpr5
                                        ; implicit-def: $vgpr6
	s_and_saveexec_b32 s1, vcc_lo
	s_cbranch_execz .LBB0_11
; %bb.10:
	v_mov_b32_e32 v3, 0
	v_add_co_u32 v5, s0, s2, v0
	v_add_co_ci_u32_e64 v6, s0, s3, v1, s0
	v_lshlrev_b64 v[3:4], 2, v[2:3]
	v_add_co_u32 v7, s0, v5, v3
	v_add_co_ci_u32_e64 v8, s0, v6, v4, s0
	v_add_co_u32 v4, s0, 0x800, v7
	v_add_co_ci_u32_e64 v5, s0, 0, v8, s0
	;; [unrolled: 2-line block ×3, first 2 shown]
	s_clause 0x5
	global_load_dword v3, v[4:5], off offset:724
	global_load_dword v5, v[4:5], off offset:1648
	;; [unrolled: 1-line block ×3, first 2 shown]
	global_load_dword v4, v[7:8], off
	global_load_dword v15, v[7:8], off offset:924
	global_load_dword v7, v[7:8], off offset:1848
	s_waitcnt vmcnt(5)
	v_lshrrev_b32_e32 v14, 16, v3
	s_waitcnt vmcnt(4)
	v_lshrrev_b32_e32 v16, 16, v5
	;; [unrolled: 2-line block ×3, first 2 shown]
.LBB0_11:
	s_or_b32 exec_lo, exec_lo, s1
	s_waitcnt vmcnt(2)
	v_sub_f16_e32 v8, v4, v3
	s_waitcnt vmcnt(1)
	v_sub_f16_e32 v9, v15, v5
	;; [unrolled: 2-line block ×3, first 2 shown]
	v_add_nc_u32_e32 v5, 0xe7, v2
	v_lshl_add_u32 v19, v2, 2, 0
	v_fma_f16 v6, v4, 2.0, -v8
	v_fma_f16 v12, v15, 2.0, -v9
	;; [unrolled: 1-line block ×3, first 2 shown]
	v_lshlrev_b32_e32 v3, 1, v2
	v_lshl_add_u32 v25, v5, 2, 0
	v_pack_b32_f16 v13, v6, v8
	v_pack_b32_f16 v18, v12, v9
	v_add_nc_u32_e32 v26, 0x738, v19
	v_pack_b32_f16 v20, v11, v10
	v_cmp_gt_u32_e64 s0, 0xc6, v2
	ds_write_b32 v19, v13
	ds_write_b32 v25, v18
	v_sub_nc_u32_e32 v18, v19, v3
                                        ; implicit-def: $vgpr13
	ds_write_b32 v19, v20 offset:1848
	s_waitcnt lgkmcnt(0)
	s_barrier
	buffer_gl0_inv
	s_and_saveexec_b32 s1, s0
	s_cbranch_execz .LBB0_13
; %bb.12:
	ds_read_u16 v6, v18
	ds_read_u16 v8, v18 offset:396
	ds_read_u16 v12, v18 offset:792
	;; [unrolled: 1-line block ×6, first 2 shown]
.LBB0_13:
	s_or_b32 exec_lo, exec_lo, s1
	v_lshrrev_b32_e32 v4, 16, v4
	v_lshrrev_b32_e32 v15, 16, v15
	;; [unrolled: 1-line block ×3, first 2 shown]
	s_waitcnt lgkmcnt(0)
	s_barrier
	v_sub_f16_e32 v21, v4, v14
	v_sub_f16_e32 v23, v15, v16
	;; [unrolled: 1-line block ×3, first 2 shown]
	buffer_gl0_inv
	v_fma_f16 v7, v4, 2.0, -v21
	v_fma_f16 v22, v15, 2.0, -v23
	v_fma_f16 v24, v24, 2.0, -v20
	v_pack_b32_f16 v4, v7, v21
	v_pack_b32_f16 v14, v22, v23
	;; [unrolled: 1-line block ×3, first 2 shown]
	ds_write_b32 v19, v4
	ds_write_b32 v25, v14
	;; [unrolled: 1-line block ×3, first 2 shown]
	s_waitcnt lgkmcnt(0)
	s_barrier
	buffer_gl0_inv
                                        ; implicit-def: $vgpr25
	s_and_saveexec_b32 s1, s0
	s_cbranch_execz .LBB0_15
; %bb.14:
	ds_read_u16 v7, v18
	ds_read_u16 v21, v18 offset:396
	ds_read_u16 v22, v18 offset:792
	;; [unrolled: 1-line block ×6, first 2 shown]
.LBB0_15:
	s_or_b32 exec_lo, exec_lo, s1
	v_and_b32_e32 v4, 1, v2
	v_mul_u32_u24_e32 v14, 6, v4
	v_lshlrev_b32_e32 v14, 2, v14
	s_clause 0x1
	global_load_dwordx4 v[26:29], v14, s[8:9]
	global_load_dwordx2 v[30:31], v14, s[8:9] offset:16
	s_waitcnt vmcnt(0) lgkmcnt(0)
	s_barrier
	buffer_gl0_inv
	v_mul_f16_sdwa v16, v21, v26 dst_sel:DWORD dst_unused:UNUSED_PAD src0_sel:DWORD src1_sel:WORD_1
	v_mul_f16_sdwa v15, v22, v27 dst_sel:DWORD dst_unused:UNUSED_PAD src0_sel:DWORD src1_sel:WORD_1
	;; [unrolled: 1-line block ×10, first 2 shown]
	v_fmac_f16_e32 v16, v8, v26
	v_fmac_f16_e32 v15, v12, v27
	v_fmac_f16_e32 v19, v13, v31
	v_fmac_f16_e32 v18, v10, v30
	v_mul_f16_sdwa v33, v12, v27 dst_sel:DWORD dst_unused:UNUSED_PAD src0_sel:DWORD src1_sel:WORD_1
	v_mul_f16_sdwa v36, v10, v30 dst_sel:DWORD dst_unused:UNUSED_PAD src0_sel:DWORD src1_sel:WORD_1
	v_fma_f16 v21, v21, v26, -v32
	v_fmac_f16_e32 v14, v9, v28
	v_fma_f16 v8, v23, v28, -v34
	v_fmac_f16_e32 v17, v11, v29
	v_fma_f16 v9, v24, v29, -v35
	v_fma_f16 v10, v25, v31, -v37
	v_add_f16_e32 v23, v16, v19
	v_add_f16_e32 v25, v15, v18
	v_fma_f16 v22, v22, v27, -v33
	v_fma_f16 v11, v20, v30, -v36
	v_add_f16_e32 v12, v14, v17
	v_sub_f16_e32 v27, v21, v10
	v_sub_f16_e32 v13, v9, v8
	v_add_f16_e32 v20, v25, v23
	v_sub_f16_e32 v28, v22, v11
	v_sub_f16_e32 v24, v23, v12
	;; [unrolled: 1-line block ×4, first 2 shown]
	v_add_f16_e32 v12, v12, v20
	v_add_f16_e32 v20, v13, v28
	v_sub_f16_e32 v30, v13, v28
	v_mul_f16_e32 v31, 0x3a52, v24
	v_mul_f16_e32 v32, 0xb574, v26
	v_add_f16_e32 v6, v6, v12
	v_add_f16_e32 v33, v20, v27
	v_fmamk_f16 v13, v29, 0x2b26, v31
	v_fmamk_f16 v20, v30, 0x3846, v32
	;; [unrolled: 1-line block ×3, first 2 shown]
	v_fmac_f16_e32 v20, 0xb70e, v33
	v_add_f16_e32 v26, v13, v24
	v_lshrrev_b32_e32 v13, 1, v2
	v_sub_f16_e32 v12, v26, v20
	s_and_saveexec_b32 s1, s0
	s_cbranch_execz .LBB0_17
; %bb.16:
	v_sub_f16_e32 v23, v25, v23
	v_sub_f16_e32 v25, v28, v27
	v_mul_f16_e32 v27, 0x2b26, v29
	v_mul_f16_e32 v28, 0x3846, v30
	;; [unrolled: 1-line block ×3, first 2 shown]
	v_fma_f16 v30, v23, 0xb9e0, -v31
	v_fma_f16 v31, v25, 0x3b00, -v32
	v_mul_u32_u24_e32 v32, 14, v13
	v_fma_f16 v25, v25, 0xbb00, -v28
	v_fma_f16 v23, v23, 0x39e0, -v27
	v_add_f16_e32 v27, v30, v24
	v_add_f16_e32 v28, v29, v31
	v_or_b32_e32 v30, v32, v4
	v_add_f16_e32 v25, v29, v25
	v_add_f16_e32 v23, v23, v24
	;; [unrolled: 1-line block ×4, first 2 shown]
	v_lshl_add_u32 v29, v30, 1, 0
	v_sub_f16_e32 v24, v27, v28
	v_sub_f16_e32 v27, v23, v25
	v_add_f16_e32 v23, v25, v23
	ds_write_b16 v29, v6
	ds_write_b16 v29, v20 offset:4
	ds_write_b16 v29, v26 offset:8
	;; [unrolled: 1-line block ×6, first 2 shown]
.LBB0_17:
	s_or_b32 exec_lo, exec_lo, s1
	v_add_f16_e32 v21, v21, v10
	v_add_f16_e32 v22, v22, v11
	v_sub_f16_e32 v16, v16, v19
	v_add_f16_e32 v8, v8, v9
	v_sub_f16_e32 v10, v17, v14
	v_sub_f16_e32 v15, v15, v18
	v_add_f16_e32 v9, v22, v21
	v_lshl_add_u32 v6, v2, 1, 0
	v_sub_f16_e32 v11, v21, v8
	v_sub_f16_e32 v27, v8, v22
	v_add_f16_e32 v20, v10, v15
	v_add_f16_e32 v19, v8, v9
	v_sub_f16_e32 v8, v16, v10
	v_sub_f16_e32 v26, v10, v15
	v_mul_f16_e32 v23, 0x3a52, v11
	s_waitcnt lgkmcnt(0)
	v_add_f16_e32 v14, v7, v19
	v_mul_f16_e32 v18, 0xb574, v8
	s_barrier
	buffer_gl0_inv
	ds_read_u16 v11, v6
	ds_read_u16 v7, v6 offset:2310
	ds_read_u16 v9, v6 offset:1848
	;; [unrolled: 1-line block ×5, first 2 shown]
	v_add_f16_e32 v28, v20, v16
	v_fmamk_f16 v25, v19, 0xbcab, v14
	v_fmamk_f16 v20, v27, 0x2b26, v23
	v_fmamk_f16 v19, v26, 0x3846, v18
	s_waitcnt lgkmcnt(0)
	s_barrier
	buffer_gl0_inv
	v_add_f16_e32 v24, v20, v25
	v_fmac_f16_e32 v19, 0xb70e, v28
	v_add_f16_e32 v20, v19, v24
	s_and_saveexec_b32 s1, s0
	s_cbranch_execz .LBB0_19
; %bb.18:
	v_mul_f16_e32 v27, 0x2b26, v27
	v_sub_f16_e32 v21, v22, v21
	v_sub_f16_e32 v15, v15, v16
	v_mul_f16_e32 v16, 0x3846, v26
	v_mul_u32_u24_e32 v13, 14, v13
	v_mul_f16_e32 v22, 0xb70e, v28
	v_fma_f16 v26, v21, 0x39e0, -v27
	v_fma_f16 v21, v21, 0xb9e0, -v23
	v_fma_f16 v18, v15, 0x3b00, -v18
	v_fma_f16 v15, v15, 0xbb00, -v16
	v_or_b32_e32 v4, v13, v4
	v_add_f16_e32 v16, v26, v25
	v_add_f16_e32 v21, v21, v25
	v_add_f16_e32 v13, v22, v18
	v_add_f16_e32 v15, v22, v15
	v_lshl_add_u32 v4, v4, 1, 0
	v_sub_f16_e32 v18, v24, v19
	v_sub_f16_e32 v19, v21, v13
	v_add_f16_e32 v22, v15, v16
	v_sub_f16_e32 v15, v16, v15
	v_add_f16_e32 v13, v13, v21
	ds_write_b16 v4, v14
	ds_write_b16 v4, v18 offset:4
	ds_write_b16 v4, v19 offset:8
	;; [unrolled: 1-line block ×6, first 2 shown]
.LBB0_19:
	s_or_b32 exec_lo, exec_lo, s1
	v_lshrrev_b16 v4, 1, v2
	v_lshrrev_b16 v13, 1, v5
	v_mov_b32_e32 v14, 0x4925
	v_mov_b32_e32 v16, 3
	s_waitcnt lgkmcnt(0)
	v_and_b32_e32 v4, 0x7f, v4
	s_barrier
	v_mul_u32_u24_sdwa v13, v13, v14 dst_sel:DWORD dst_unused:UNUSED_PAD src0_sel:WORD_0 src1_sel:DWORD
	buffer_gl0_inv
	v_mov_b32_e32 v25, 0x54
	v_mul_lo_u16 v15, 0x93, v4
	v_cmp_gt_u32_e64 s0, 0x7e, v2
	v_lshrrev_b32_e32 v13, 17, v13
                                        ; implicit-def: $vgpr35
	v_lshrrev_b16 v14, 10, v15
	v_mul_lo_u16 v18, v13, 14
	v_mul_u32_u24_e32 v13, 0x54, v13
	v_mul_lo_u16 v15, v14, 14
	v_mul_u32_u24_sdwa v14, v14, v25 dst_sel:DWORD dst_unused:UNUSED_PAD src0_sel:WORD_0 src1_sel:DWORD
	v_sub_nc_u16 v18, v5, v18
	v_sub_nc_u16 v15, v2, v15
	v_lshlrev_b32_sdwa v19, v16, v15 dst_sel:DWORD dst_unused:UNUSED_PAD src0_sel:DWORD src1_sel:BYTE_0
	v_lshlrev_b32_sdwa v16, v16, v18 dst_sel:DWORD dst_unused:UNUSED_PAD src0_sel:DWORD src1_sel:WORD_0
	s_clause 0x1
	global_load_dwordx2 v[22:23], v19, s[8:9] offset:48
	global_load_dwordx2 v[26:27], v16, s[8:9] offset:48
	ds_read_u16 v24, v6 offset:924
	ds_read_u16 v28, v6 offset:1848
	;; [unrolled: 1-line block ×4, first 2 shown]
	v_mov_b32_e32 v19, 1
	ds_read_u16 v16, v6
	ds_read_u16 v21, v6 offset:462
	s_waitcnt vmcnt(0) lgkmcnt(0)
	s_barrier
	v_lshlrev_b32_sdwa v18, v19, v18 dst_sel:DWORD dst_unused:UNUSED_PAD src0_sel:DWORD src1_sel:WORD_0
	v_lshlrev_b32_sdwa v15, v19, v15 dst_sel:DWORD dst_unused:UNUSED_PAD src0_sel:DWORD src1_sel:BYTE_0
	buffer_gl0_inv
	v_add3_u32 v13, 0, v13, v18
	v_add3_u32 v14, 0, v14, v15
	v_mul_f16_sdwa v19, v24, v22 dst_sel:DWORD dst_unused:UNUSED_PAD src0_sel:DWORD src1_sel:WORD_1
	v_mul_f16_sdwa v29, v28, v23 dst_sel:DWORD dst_unused:UNUSED_PAD src0_sel:DWORD src1_sel:WORD_1
	;; [unrolled: 1-line block ×8, first 2 shown]
	v_fmac_f16_e32 v19, v10, v22
	v_fmac_f16_e32 v29, v9, v23
	;; [unrolled: 1-line block ×4, first 2 shown]
	v_fma_f16 v10, v24, v22, -v15
	v_fma_f16 v9, v28, v23, -v32
	;; [unrolled: 1-line block ×4, first 2 shown]
	v_add_f16_e32 v15, v19, v29
	v_add_f16_e32 v23, v18, v25
	;; [unrolled: 1-line block ×3, first 2 shown]
	v_sub_f16_e32 v26, v10, v9
	v_add_f16_e32 v24, v17, v18
	v_fmac_f16_e32 v11, -0.5, v15
	v_sub_f16_e32 v27, v8, v7
	v_fmac_f16_e32 v17, -0.5, v23
	v_add_f16_e32 v15, v22, v29
	v_add_f16_e32 v22, v24, v25
	v_fmamk_f16 v24, v26, 0xbaee, v11
	v_fmac_f16_e32 v11, 0x3aee, v26
	v_fmamk_f16 v23, v27, 0xbaee, v17
	v_fmac_f16_e32 v17, 0x3aee, v27
	ds_write_b16 v14, v15
	ds_write_b16 v14, v24 offset:28
	ds_write_b16 v14, v11 offset:56
	ds_write_b16 v13, v22
	ds_write_b16 v13, v23 offset:28
	ds_write_b16 v13, v17 offset:56
	s_waitcnt lgkmcnt(0)
	s_barrier
	buffer_gl0_inv
                                        ; implicit-def: $vgpr27
                                        ; implicit-def: $vgpr28
                                        ; implicit-def: $vgpr26
	s_and_saveexec_b32 s1, s0
	s_cbranch_execz .LBB0_21
; %bb.20:
	ds_read_u16 v15, v6
	ds_read_u16 v24, v6 offset:252
	ds_read_u16 v11, v6 offset:504
	;; [unrolled: 1-line block ×10, first 2 shown]
.LBB0_21:
	s_or_b32 exec_lo, exec_lo, s1
	v_add_f16_e32 v30, v10, v9
	v_add_f16_e32 v31, v8, v7
	;; [unrolled: 1-line block ×3, first 2 shown]
	v_sub_f16_e32 v19, v19, v29
	v_add_f16_e32 v8, v21, v8
	v_fmac_f16_e32 v16, -0.5, v30
	v_sub_f16_e32 v18, v18, v25
	v_fmac_f16_e32 v21, -0.5, v31
	v_add_f16_e32 v10, v10, v9
	v_add_f16_e32 v25, v8, v7
	v_fmamk_f16 v31, v19, 0x3aee, v16
	v_fmac_f16_e32 v16, 0xbaee, v19
	v_fmamk_f16 v36, v18, 0x3aee, v21
	v_fmac_f16_e32 v21, 0xbaee, v18
	s_waitcnt lgkmcnt(0)
	s_barrier
	buffer_gl0_inv
	ds_write_b16 v14, v10
	ds_write_b16 v14, v31 offset:28
	ds_write_b16 v14, v16 offset:56
	ds_write_b16 v13, v25
	ds_write_b16 v13, v36 offset:28
	ds_write_b16 v13, v21 offset:56
	s_waitcnt lgkmcnt(0)
	s_barrier
	buffer_gl0_inv
                                        ; implicit-def: $vgpr37
                                        ; implicit-def: $vgpr38
                                        ; implicit-def: $vgpr39
                                        ; implicit-def: $vgpr40
	s_and_saveexec_b32 s1, s0
	s_cbranch_execz .LBB0_23
; %bb.22:
	ds_read_u16 v10, v6
	ds_read_u16 v31, v6 offset:252
	ds_read_u16 v16, v6 offset:504
	;; [unrolled: 1-line block ×10, first 2 shown]
.LBB0_23:
	s_or_b32 exec_lo, exec_lo, s1
	v_mul_lo_u16 v4, v4, 49
	v_mov_b32_e32 v8, 10
	v_lshrrev_b16 v4, 10, v4
	v_mul_lo_u16 v7, v4, 42
	v_sub_nc_u16 v7, v2, v7
	v_mul_u32_u24_sdwa v8, v7, v8 dst_sel:DWORD dst_unused:UNUSED_PAD src0_sel:BYTE_0 src1_sel:DWORD
	v_lshlrev_b32_e32 v8, 2, v8
	s_clause 0x2
	global_load_dwordx4 v[41:44], v8, s[8:9] offset:160
	global_load_dwordx4 v[45:48], v8, s[8:9] offset:176
	global_load_dwordx2 v[49:50], v8, s[8:9] offset:192
	s_waitcnt vmcnt(0) lgkmcnt(0)
	s_barrier
	buffer_gl0_inv
	v_mul_f16_sdwa v32, v31, v41 dst_sel:DWORD dst_unused:UNUSED_PAD src0_sel:DWORD src1_sel:WORD_1
	v_mul_f16_sdwa v34, v24, v41 dst_sel:DWORD dst_unused:UNUSED_PAD src0_sel:DWORD src1_sel:WORD_1
	;; [unrolled: 1-line block ×20, first 2 shown]
	v_fmac_f16_e32 v32, v24, v41
	v_fma_f16 v34, v31, v41, -v34
	v_fmac_f16_e32 v29, v11, v42
	v_fma_f16 v31, v16, v42, -v51
	;; [unrolled: 2-line block ×10, first 2 shown]
	s_and_saveexec_b32 s1, s0
	s_cbranch_execz .LBB0_25
; %bb.24:
	v_sub_f16_e32 v22, v34, v27
	v_add_f16_e32 v21, v32, v33
	v_sub_f16_e32 v24, v31, v28
	v_add_f16_e32 v23, v29, v30
	v_sub_f16_e32 v36, v25, v26
	v_mul_f16_e32 v41, 0xb482, v22
	v_add_f16_e32 v35, v18, v19
	v_mul_f16_e32 v42, 0x3853, v24
	v_sub_f16_e32 v38, v16, v17
	v_mul_f16_e32 v43, 0xba0c, v36
	v_fma_f16 v46, v21, 0xbbad, -v41
	v_fmac_f16_e32 v41, 0xbbad, v21
	v_fma_f16 v49, v23, 0x3abb, -v42
	v_fmac_f16_e32 v42, 0x3abb, v23
	v_add_f16_e32 v37, v13, v14
	v_add_f16_e32 v46, v15, v46
	;; [unrolled: 1-line block ×3, first 2 shown]
	v_sub_f16_e32 v40, v11, v12
	v_mul_f16_e32 v44, 0x3b47, v38
	v_fma_f16 v50, v35, 0xb93d, -v43
	v_add_f16_e32 v46, v49, v46
	v_fmac_f16_e32 v43, 0xb93d, v35
	v_add_f16_e32 v41, v42, v41
	v_add_f16_e32 v39, v8, v9
	v_mul_f16_e32 v45, 0xbbeb, v40
	v_mul_f16_e32 v47, 0xba0c, v22
	v_fma_f16 v51, v37, 0x36a6, -v44
	v_add_f16_e32 v46, v50, v46
	v_fmac_f16_e32 v44, 0x36a6, v37
	v_add_f16_e32 v41, v43, v41
	v_mul_f16_e32 v48, 0x3beb, v24
	v_fma_f16 v49, v39, 0xb08e, -v45
	v_fma_f16 v50, v21, 0xb93d, -v47
	v_add_f16_e32 v42, v51, v46
	v_add_f16_e32 v41, v44, v41
	v_fmac_f16_e32 v45, 0xb08e, v39
	v_fmac_f16_e32 v47, 0xb93d, v21
	v_add_f16_e32 v46, v15, v50
	v_add_f16_e32 v42, v49, v42
	v_fma_f16 v43, v23, 0xb08e, -v48
	v_mul_f16_e32 v49, 0xb853, v36
	v_add_f16_e32 v41, v45, v41
	v_add_f16_e32 v45, v15, v47
	v_fmac_f16_e32 v48, 0xb08e, v23
	v_add_f16_e32 v43, v43, v46
	v_fma_f16 v44, v35, 0x3abb, -v49
	v_mul_f16_e32 v46, 0xb482, v38
	v_fmac_f16_e32 v49, 0x3abb, v35
	v_add_f16_e32 v45, v48, v45
	v_mul_f16_e32 v47, 0x3b47, v40
	v_add_f16_e32 v43, v44, v43
	v_fma_f16 v44, v37, 0xbbad, -v46
	v_mul_f16_e32 v50, 0xbbeb, v22
	v_add_f16_e32 v45, v49, v45
	v_fmac_f16_e32 v46, 0xbbad, v37
	v_mul_f16_e32 v51, 0x3482, v24
	v_add_f16_e32 v43, v44, v43
	v_fma_f16 v44, v39, 0x36a6, -v47
	v_fma_f16 v48, v21, 0xb08e, -v50
	v_add_f16_e32 v45, v46, v45
	v_fmac_f16_e32 v47, 0x36a6, v39
	v_fmac_f16_e32 v50, 0xb08e, v21
	v_add_f16_e32 v43, v44, v43
	v_add_f16_e32 v44, v15, v48
	v_fma_f16 v48, v23, 0xbbad, -v51
	v_mul_f16_e32 v49, 0x3b47, v36
	v_add_f16_e32 v45, v47, v45
	v_add_f16_e32 v47, v15, v50
	v_fmac_f16_e32 v51, 0xbbad, v23
	v_add_f16_e32 v20, v15, v32
	v_add_f16_e32 v44, v48, v44
	v_fma_f16 v46, v35, 0x36a6, -v49
	v_mul_f16_e32 v48, 0xb853, v38
	v_add_f16_e32 v47, v51, v47
	v_fmac_f16_e32 v49, 0x36a6, v35
	v_add_f16_e32 v20, v20, v29
	v_add_f16_e32 v44, v46, v44
	v_fma_f16 v46, v37, 0x3abb, -v48
	v_mul_f16_e32 v50, 0xba0c, v40
	v_mul_f16_e32 v52, 0xbb47, v22
	v_add_f16_e32 v47, v49, v47
	v_fmac_f16_e32 v48, 0x3abb, v37
	v_add_f16_e32 v20, v20, v18
	v_add_f16_e32 v44, v46, v44
	v_fma_f16 v46, v39, 0xb93d, -v50
	v_fma_f16 v51, v21, 0x36a6, -v52
	v_mul_f16_e32 v53, 0xba0c, v24
	v_add_f16_e32 v47, v48, v47
	v_fmac_f16_e32 v50, 0xb93d, v39
	v_fmac_f16_e32 v52, 0x36a6, v21
	v_add_f16_e32 v20, v20, v13
	v_add_f16_e32 v44, v46, v44
	;; [unrolled: 1-line block ×3, first 2 shown]
	v_fma_f16 v49, v23, 0xb93d, -v53
	v_mul_f16_e32 v51, 0x3482, v36
	v_add_f16_e32 v47, v50, v47
	v_add_f16_e32 v50, v15, v52
	v_fmac_f16_e32 v53, 0xb93d, v23
	v_mul_f16_e32 v22, 0xb853, v22
	v_add_f16_e32 v20, v20, v8
	v_fma_f16 v48, v35, 0xbbad, -v51
	v_fmac_f16_e32 v51, 0xbbad, v35
	v_add_f16_e32 v50, v53, v50
	v_mul_f16_e32 v24, 0xbb47, v24
	v_fma_f16 v53, v21, 0x3abb, -v22
	v_fmac_f16_e32 v22, 0x3abb, v21
	v_add_f16_e32 v20, v20, v9
	v_add_f16_e32 v50, v51, v50
	v_fma_f16 v51, v23, 0x36a6, -v24
	v_mul_f16_e32 v36, 0xbbeb, v36
	v_add_f16_e32 v22, v15, v22
	v_fmac_f16_e32 v24, 0x36a6, v23
	v_add_f16_e32 v20, v20, v14
	v_add_f16_e32 v46, v49, v46
	v_mul_f16_e32 v49, 0x3beb, v38
	v_add_f16_e32 v15, v15, v53
	v_fma_f16 v23, v35, 0xb08e, -v36
	v_mul_f16_e32 v38, 0xba0c, v38
	v_add_f16_e32 v22, v24, v22
	v_fmac_f16_e32 v36, 0xb08e, v35
	v_add_f16_e32 v20, v20, v19
	v_add_f16_e32 v46, v48, v46
	v_fma_f16 v48, v37, 0xb08e, -v49
	v_fmac_f16_e32 v49, 0xb08e, v37
	v_add_f16_e32 v15, v51, v15
	v_fma_f16 v35, v37, 0xb93d, -v38
	v_add_f16_e32 v22, v36, v22
	v_fmac_f16_e32 v38, 0xb93d, v37
	v_mov_b32_e32 v36, 0x39c
	v_mov_b32_e32 v37, 1
	v_mul_f16_e32 v52, 0x3853, v40
	v_mul_f16_e32 v40, 0xb482, v40
	v_add_f16_e32 v20, v20, v30
	v_add_f16_e32 v15, v23, v15
	v_mul_u32_u24_sdwa v36, v4, v36 dst_sel:DWORD dst_unused:UNUSED_PAD src0_sel:WORD_0 src1_sel:DWORD
	v_lshlrev_b32_sdwa v37, v37, v7 dst_sel:DWORD dst_unused:UNUSED_PAD src0_sel:DWORD src1_sel:BYTE_0
	v_fma_f16 v23, v39, 0xbbad, -v40
	v_add_f16_e32 v22, v38, v22
	v_fmac_f16_e32 v40, 0xbbad, v39
	v_fma_f16 v21, v39, 0x3abb, -v52
	v_add_f16_e32 v24, v49, v50
	v_fmac_f16_e32 v52, 0x3abb, v39
	v_add_f16_e32 v20, v20, v33
	v_add_f16_e32 v38, v48, v46
	v_add_f16_e32 v15, v35, v15
	v_add3_u32 v35, 0, v36, v37
	v_add_f16_e32 v22, v40, v22
	v_add_f16_e32 v24, v52, v24
	;; [unrolled: 1-line block ×4, first 2 shown]
	ds_write_b16 v35, v20
	ds_write_b16 v35, v22 offset:84
	ds_write_b16 v35, v24 offset:168
	;; [unrolled: 1-line block ×10, first 2 shown]
.LBB0_25:
	s_or_b32 exec_lo, exec_lo, s1
	s_waitcnt lgkmcnt(0)
	s_barrier
	buffer_gl0_inv
	ds_read_u16 v15, v6
	ds_read_u16 v23, v6 offset:2310
	ds_read_u16 v20, v6 offset:1848
	;; [unrolled: 1-line block ×5, first 2 shown]
	s_waitcnt lgkmcnt(0)
	s_barrier
	buffer_gl0_inv
	s_and_saveexec_b32 s1, s0
	s_cbranch_execz .LBB0_27
; %bb.26:
	v_add_f16_e32 v35, v10, v34
	v_sub_f16_e32 v29, v29, v30
	v_add_f16_e32 v34, v34, v27
	v_sub_f16_e32 v32, v32, v33
	v_add_f16_e32 v33, v31, v28
	v_add_f16_e32 v30, v35, v31
	v_sub_f16_e32 v18, v18, v19
	v_mul_f16_e32 v31, 0x3abb, v34
	v_mul_f16_e32 v35, 0x36a6, v34
	;; [unrolled: 1-line block ×3, first 2 shown]
	v_add_f16_e32 v30, v30, v25
	v_mul_f16_e32 v37, 0xb93d, v34
	v_mul_f16_e32 v34, 0xbbad, v34
	;; [unrolled: 1-line block ×3, first 2 shown]
	v_fmamk_f16 v41, v32, 0x3853, v31
	v_add_f16_e32 v30, v30, v16
	v_fmac_f16_e32 v31, 0xb853, v32
	v_mul_f16_e32 v39, 0xb93d, v33
	v_fmamk_f16 v42, v32, 0x3b47, v35
	v_fmac_f16_e32 v35, 0xbb47, v32
	v_add_f16_e32 v30, v30, v11
	v_fmamk_f16 v43, v32, 0x3beb, v36
	v_fmac_f16_e32 v36, 0xbbeb, v32
	v_fmamk_f16 v44, v32, 0x3a0c, v37
	v_fmac_f16_e32 v37, 0xba0c, v32
	v_add_f16_e32 v30, v30, v12
	v_fmamk_f16 v45, v32, 0x3482, v34
	v_fmac_f16_e32 v34, 0xb482, v32
	v_fmamk_f16 v32, v29, 0x3b47, v38
	v_fmac_f16_e32 v38, 0xbb47, v29
	v_add_f16_e32 v30, v30, v17
	v_add_f16_e32 v31, v10, v31
	v_mul_f16_e32 v40, 0xbbad, v33
	v_fmamk_f16 v46, v29, 0x3a0c, v39
	v_add_f16_e32 v35, v10, v35
	v_add_f16_e32 v30, v30, v26
	v_fmac_f16_e32 v39, 0xba0c, v29
	v_add_f16_e32 v25, v25, v26
	v_add_f16_e32 v41, v10, v41
	;; [unrolled: 1-line block ×7, first 2 shown]
	v_mul_f16_e32 v19, 0xb08e, v25
	v_add_f16_e32 v27, v28, v27
	v_add_f16_e32 v28, v38, v31
	v_mul_f16_e32 v38, 0xb08e, v33
	v_mul_f16_e32 v33, 0x3abb, v33
	v_add_f16_e32 v43, v10, v43
	v_add_f16_e32 v36, v10, v36
	;; [unrolled: 1-line block ×3, first 2 shown]
	v_fmamk_f16 v26, v29, 0xbbeb, v38
	v_fmac_f16_e32 v38, 0x3beb, v29
	v_fmamk_f16 v39, v29, 0xb853, v33
	v_add_f16_e32 v10, v10, v34
	v_add_f16_e32 v32, v32, v41
	v_fmamk_f16 v31, v29, 0xb482, v40
	v_fmac_f16_e32 v40, 0x3482, v29
	v_fmac_f16_e32 v33, 0x3853, v29
	v_add_f16_e32 v29, v38, v30
	v_add_f16_e32 v30, v39, v37
	v_fmamk_f16 v37, v18, 0x3beb, v19
	v_mul_f16_e32 v38, 0xbbad, v25
	v_add_f16_e32 v34, v46, v42
	v_add_f16_e32 v10, v33, v10
	v_fmac_f16_e32 v19, 0xbbeb, v18
	v_mul_f16_e32 v33, 0x36a6, v25
	v_add_f16_e32 v32, v37, v32
	v_fmamk_f16 v37, v18, 0xb482, v38
	v_add_f16_e32 v31, v31, v43
	v_add_f16_e32 v36, v40, v36
	;; [unrolled: 1-line block ×3, first 2 shown]
	v_fmamk_f16 v28, v18, 0xbb47, v33
	v_fmac_f16_e32 v33, 0x3b47, v18
	v_add_f16_e32 v34, v37, v34
	v_mul_f16_e32 v37, 0x3abb, v25
	v_add_f16_e32 v16, v16, v17
	v_mul_f16_e32 v17, 0xb93d, v25
	v_add_f16_e32 v26, v26, v44
	v_add_f16_e32 v28, v28, v31
	;; [unrolled: 1-line block ×3, first 2 shown]
	v_fmamk_f16 v25, v18, 0x3853, v37
	v_fmac_f16_e32 v37, 0xb853, v18
	v_sub_f16_e32 v13, v13, v14
	v_mul_f16_e32 v14, 0xb93d, v16
	v_fmamk_f16 v33, v18, 0x3a0c, v17
	v_fmac_f16_e32 v38, 0x3482, v18
	v_add_f16_e32 v25, v25, v26
	v_add_f16_e32 v26, v37, v29
	v_fmac_f16_e32 v17, 0xba0c, v18
	v_fmamk_f16 v18, v13, 0x3a0c, v14
	v_add_f16_e32 v29, v33, v30
	v_mul_f16_e32 v30, 0xb08e, v16
	v_fmac_f16_e32 v14, 0xba0c, v13
	v_add_f16_e32 v10, v17, v10
	v_add_f16_e32 v17, v18, v32
	v_mul_f16_e32 v18, 0x3abb, v16
	v_fmamk_f16 v32, v13, 0xbbeb, v30
	v_add_f16_e32 v14, v14, v19
	v_mul_f16_e32 v19, 0xbbad, v16
	v_mul_f16_e32 v16, 0x36a6, v16
	v_add_f16_e32 v11, v11, v12
	v_add_f16_e32 v32, v32, v34
	v_sub_f16_e32 v8, v8, v9
	v_fmamk_f16 v34, v13, 0x3482, v19
	v_fmac_f16_e32 v19, 0xb482, v13
	v_fmamk_f16 v12, v13, 0xbb47, v16
	v_fmac_f16_e32 v16, 0x3b47, v13
	v_mul_f16_e32 v9, 0xbbad, v11
	v_fmac_f16_e32 v30, 0x3beb, v13
	v_fmamk_f16 v33, v13, 0x3853, v18
	v_fmac_f16_e32 v18, 0xb853, v13
	v_add_f16_e32 v13, v19, v26
	v_mul_f16_e32 v19, 0x3abb, v11
	v_add_f16_e32 v10, v16, v10
	v_fmamk_f16 v16, v8, 0x3482, v9
	v_mul_f16_e32 v26, 0xb93d, v11
	v_add_f16_e32 v35, v38, v35
	v_add_f16_e32 v28, v33, v28
	;; [unrolled: 1-line block ×3, first 2 shown]
	v_fmac_f16_e32 v9, 0xb482, v8
	v_fmamk_f16 v29, v8, 0xb853, v19
	v_add_f16_e32 v16, v16, v17
	v_fmamk_f16 v17, v8, 0x3a0c, v26
	v_add_f16_e32 v30, v30, v35
	v_fmac_f16_e32 v19, 0x3853, v8
	v_add_f16_e32 v9, v9, v14
	v_add_f16_e32 v14, v29, v32
	;; [unrolled: 1-line block ×3, first 2 shown]
	v_mov_b32_e32 v28, 0x39c
	v_mov_b32_e32 v29, 1
	v_add_f16_e32 v18, v18, v31
	v_add_f16_e32 v19, v19, v30
	v_fmac_f16_e32 v26, 0xba0c, v8
	v_mul_f16_e32 v30, 0x36a6, v11
	v_mul_f16_e32 v11, 0xb08e, v11
	v_mul_u32_u24_sdwa v4, v4, v28 dst_sel:DWORD dst_unused:UNUSED_PAD src0_sel:WORD_0 src1_sel:DWORD
	v_lshlrev_b32_sdwa v7, v29, v7 dst_sel:DWORD dst_unused:UNUSED_PAD src0_sel:DWORD src1_sel:BYTE_0
	v_add_f16_e32 v25, v34, v25
	v_add_f16_e32 v18, v26, v18
	v_fmamk_f16 v26, v8, 0xbb47, v30
	v_fmac_f16_e32 v30, 0x3b47, v8
	v_fmamk_f16 v28, v8, 0x3beb, v11
	v_fmac_f16_e32 v11, 0xbbeb, v8
	v_add3_u32 v4, 0, v4, v7
	v_add_f16_e32 v7, v26, v25
	v_add_f16_e32 v8, v30, v13
	;; [unrolled: 1-line block ×4, first 2 shown]
	ds_write_b16 v4, v27
	ds_write_b16 v4, v16 offset:84
	ds_write_b16 v4, v14 offset:168
	;; [unrolled: 1-line block ×10, first 2 shown]
.LBB0_27:
	s_or_b32 exec_lo, exec_lo, s1
	s_waitcnt lgkmcnt(0)
	s_barrier
	buffer_gl0_inv
	s_and_saveexec_b32 s0, vcc_lo
	s_cbranch_execz .LBB0_29
; %bb.28:
	v_lshlrev_b32_e32 v7, 1, v5
	v_mov_b32_e32 v8, 0
	v_lshlrev_b64 v[9:10], 2, v[7:8]
	v_mov_b32_e32 v4, v8
	v_lshlrev_b64 v[3:4], 2, v[3:4]
	v_add_co_u32 v9, vcc_lo, s8, v9
	v_add_co_ci_u32_e32 v10, vcc_lo, s9, v10, vcc_lo
	v_add_co_u32 v3, vcc_lo, s8, v3
	global_load_dwordx2 v[9:10], v[9:10], off offset:1840
	v_add_co_ci_u32_e32 v4, vcc_lo, s9, v4, vcc_lo
	global_load_dwordx2 v[11:12], v[3:4], off offset:1840
	v_lshrrev_b32_e32 v3, 1, v5
	ds_read_u16 v16, v6 offset:2310
	ds_read_u16 v17, v6 offset:1848
	;; [unrolled: 1-line block ×4, first 2 shown]
	v_mul_hi_u32 v4, 0x8dda5203, v3
	v_mov_b32_e32 v3, v8
	v_lshlrev_b64 v[2:3], 2, v[2:3]
	v_lshrrev_b32_e32 v4, 7, v4
	v_mul_u32_u24_e32 v7, 0x39c, v4
	v_add_co_u32 v4, vcc_lo, s2, v0
	v_add_co_ci_u32_e32 v5, vcc_lo, s3, v1, vcc_lo
	v_lshlrev_b64 v[0:1], 2, v[7:8]
	ds_read_u16 v8, v6 offset:462
	ds_read_u16 v25, v6
	v_add_co_u32 v2, vcc_lo, v4, v2
	v_add_co_ci_u32_e32 v3, vcc_lo, v5, v3, vcc_lo
	v_add_co_u32 v0, vcc_lo, v2, v0
	v_add_co_ci_u32_e32 v1, vcc_lo, v3, v1, vcc_lo
	;; [unrolled: 2-line block ×5, first 2 shown]
	s_waitcnt vmcnt(1)
	v_mul_f16_sdwa v26, v24, v9 dst_sel:DWORD dst_unused:UNUSED_PAD src0_sel:DWORD src1_sel:WORD_1
	v_mul_f16_sdwa v27, v23, v10 dst_sel:DWORD dst_unused:UNUSED_PAD src0_sel:DWORD src1_sel:WORD_1
	s_waitcnt lgkmcnt(3)
	v_mul_f16_sdwa v28, v18, v9 dst_sel:DWORD dst_unused:UNUSED_PAD src0_sel:DWORD src1_sel:WORD_1
	v_mul_f16_sdwa v29, v16, v10 dst_sel:DWORD dst_unused:UNUSED_PAD src0_sel:DWORD src1_sel:WORD_1
	v_fma_f16 v18, v18, v9, -v26
	v_fma_f16 v16, v16, v10, -v27
	v_fmac_f16_e32 v28, v24, v9
	v_fmac_f16_e32 v29, v23, v10
	s_waitcnt vmcnt(0)
	v_mul_f16_sdwa v9, v22, v11 dst_sel:DWORD dst_unused:UNUSED_PAD src0_sel:DWORD src1_sel:WORD_1
	v_mul_f16_sdwa v10, v20, v12 dst_sel:DWORD dst_unused:UNUSED_PAD src0_sel:DWORD src1_sel:WORD_1
	s_waitcnt lgkmcnt(2)
	v_mul_f16_sdwa v23, v19, v11 dst_sel:DWORD dst_unused:UNUSED_PAD src0_sel:DWORD src1_sel:WORD_1
	v_mul_f16_sdwa v24, v17, v12 dst_sel:DWORD dst_unused:UNUSED_PAD src0_sel:DWORD src1_sel:WORD_1
	v_add_f16_e32 v30, v28, v29
	v_fma_f16 v9, v19, v11, -v9
	v_fma_f16 v10, v17, v12, -v10
	v_fmac_f16_e32 v23, v22, v11
	v_fmac_f16_e32 v24, v20, v12
	v_add_f16_e32 v26, v18, v16
	v_sub_f16_e32 v31, v18, v16
	s_waitcnt lgkmcnt(1)
	v_add_f16_e32 v18, v8, v18
	v_add_f16_e32 v17, v9, v10
	;; [unrolled: 1-line block ×3, first 2 shown]
	v_sub_f16_e32 v27, v28, v29
	v_add_f16_e32 v28, v21, v28
	v_fma_f16 v11, -0.5, v30, v21
	v_sub_f16_e32 v20, v9, v10
	s_waitcnt lgkmcnt(0)
	v_add_f16_e32 v9, v25, v9
	v_add_f16_e32 v21, v15, v23
	;; [unrolled: 1-line block ×3, first 2 shown]
	v_sub_f16_e32 v18, v23, v24
	v_fma_f16 v17, -0.5, v17, v25
	v_fma_f16 v15, -0.5, v19, v15
	;; [unrolled: 1-line block ×3, first 2 shown]
	v_add_f16_e32 v9, v9, v10
	v_add_f16_e32 v10, v21, v24
	v_fmamk_f16 v21, v18, 0xbaee, v17
	v_fmamk_f16 v23, v20, 0x3aee, v15
	v_fmac_f16_e32 v17, 0x3aee, v18
	v_fmac_f16_e32 v15, 0xbaee, v20
	v_add_f16_e32 v16, v28, v29
	v_fmamk_f16 v22, v27, 0xbaee, v8
	v_fmamk_f16 v19, v31, 0x3aee, v11
	v_fmac_f16_e32 v8, 0x3aee, v27
	v_fmac_f16_e32 v11, 0xbaee, v31
	v_pack_b32_f16 v9, v10, v9
	v_pack_b32_f16 v10, v15, v17
	;; [unrolled: 1-line block ×6, first 2 shown]
	global_store_dword v[2:3], v9, off
	global_store_dword v[2:3], v10, off offset:1848
	global_store_dword v[4:5], v15, off offset:1648
	;; [unrolled: 1-line block ×5, first 2 shown]
.LBB0_29:
	s_endpgm
	.section	.rodata,"a",@progbits
	.p2align	6, 0x0
	.amdhsa_kernel fft_rtc_back_len1386_factors_2_7_3_11_3_wgs_231_tpt_231_halfLds_half_ip_CI_unitstride_sbrr_dirReg
		.amdhsa_group_segment_fixed_size 0
		.amdhsa_private_segment_fixed_size 0
		.amdhsa_kernarg_size 88
		.amdhsa_user_sgpr_count 6
		.amdhsa_user_sgpr_private_segment_buffer 1
		.amdhsa_user_sgpr_dispatch_ptr 0
		.amdhsa_user_sgpr_queue_ptr 0
		.amdhsa_user_sgpr_kernarg_segment_ptr 1
		.amdhsa_user_sgpr_dispatch_id 0
		.amdhsa_user_sgpr_flat_scratch_init 0
		.amdhsa_user_sgpr_private_segment_size 0
		.amdhsa_wavefront_size32 1
		.amdhsa_uses_dynamic_stack 0
		.amdhsa_system_sgpr_private_segment_wavefront_offset 0
		.amdhsa_system_sgpr_workgroup_id_x 1
		.amdhsa_system_sgpr_workgroup_id_y 0
		.amdhsa_system_sgpr_workgroup_id_z 0
		.amdhsa_system_sgpr_workgroup_info 0
		.amdhsa_system_vgpr_workitem_id 0
		.amdhsa_next_free_vgpr 60
		.amdhsa_next_free_sgpr 21
		.amdhsa_reserve_vcc 1
		.amdhsa_reserve_flat_scratch 0
		.amdhsa_float_round_mode_32 0
		.amdhsa_float_round_mode_16_64 0
		.amdhsa_float_denorm_mode_32 3
		.amdhsa_float_denorm_mode_16_64 3
		.amdhsa_dx10_clamp 1
		.amdhsa_ieee_mode 1
		.amdhsa_fp16_overflow 0
		.amdhsa_workgroup_processor_mode 1
		.amdhsa_memory_ordered 1
		.amdhsa_forward_progress 0
		.amdhsa_shared_vgpr_count 0
		.amdhsa_exception_fp_ieee_invalid_op 0
		.amdhsa_exception_fp_denorm_src 0
		.amdhsa_exception_fp_ieee_div_zero 0
		.amdhsa_exception_fp_ieee_overflow 0
		.amdhsa_exception_fp_ieee_underflow 0
		.amdhsa_exception_fp_ieee_inexact 0
		.amdhsa_exception_int_div_zero 0
	.end_amdhsa_kernel
	.text
.Lfunc_end0:
	.size	fft_rtc_back_len1386_factors_2_7_3_11_3_wgs_231_tpt_231_halfLds_half_ip_CI_unitstride_sbrr_dirReg, .Lfunc_end0-fft_rtc_back_len1386_factors_2_7_3_11_3_wgs_231_tpt_231_halfLds_half_ip_CI_unitstride_sbrr_dirReg
                                        ; -- End function
	.section	.AMDGPU.csdata,"",@progbits
; Kernel info:
; codeLenInByte = 6832
; NumSgprs: 23
; NumVgprs: 60
; ScratchSize: 0
; MemoryBound: 0
; FloatMode: 240
; IeeeMode: 1
; LDSByteSize: 0 bytes/workgroup (compile time only)
; SGPRBlocks: 2
; VGPRBlocks: 7
; NumSGPRsForWavesPerEU: 23
; NumVGPRsForWavesPerEU: 60
; Occupancy: 16
; WaveLimiterHint : 1
; COMPUTE_PGM_RSRC2:SCRATCH_EN: 0
; COMPUTE_PGM_RSRC2:USER_SGPR: 6
; COMPUTE_PGM_RSRC2:TRAP_HANDLER: 0
; COMPUTE_PGM_RSRC2:TGID_X_EN: 1
; COMPUTE_PGM_RSRC2:TGID_Y_EN: 0
; COMPUTE_PGM_RSRC2:TGID_Z_EN: 0
; COMPUTE_PGM_RSRC2:TIDIG_COMP_CNT: 0
	.text
	.p2alignl 6, 3214868480
	.fill 48, 4, 3214868480
	.type	__hip_cuid_5ccaed7daf44dcb,@object ; @__hip_cuid_5ccaed7daf44dcb
	.section	.bss,"aw",@nobits
	.globl	__hip_cuid_5ccaed7daf44dcb
__hip_cuid_5ccaed7daf44dcb:
	.byte	0                               ; 0x0
	.size	__hip_cuid_5ccaed7daf44dcb, 1

	.ident	"AMD clang version 19.0.0git (https://github.com/RadeonOpenCompute/llvm-project roc-6.4.0 25133 c7fe45cf4b819c5991fe208aaa96edf142730f1d)"
	.section	".note.GNU-stack","",@progbits
	.addrsig
	.addrsig_sym __hip_cuid_5ccaed7daf44dcb
	.amdgpu_metadata
---
amdhsa.kernels:
  - .args:
      - .actual_access:  read_only
        .address_space:  global
        .offset:         0
        .size:           8
        .value_kind:     global_buffer
      - .offset:         8
        .size:           8
        .value_kind:     by_value
      - .actual_access:  read_only
        .address_space:  global
        .offset:         16
        .size:           8
        .value_kind:     global_buffer
      - .actual_access:  read_only
        .address_space:  global
        .offset:         24
        .size:           8
        .value_kind:     global_buffer
      - .offset:         32
        .size:           8
        .value_kind:     by_value
      - .actual_access:  read_only
        .address_space:  global
        .offset:         40
        .size:           8
        .value_kind:     global_buffer
      - .actual_access:  read_only
        .address_space:  global
        .offset:         48
        .size:           8
        .value_kind:     global_buffer
      - .offset:         56
        .size:           4
        .value_kind:     by_value
      - .actual_access:  read_only
        .address_space:  global
        .offset:         64
        .size:           8
        .value_kind:     global_buffer
      - .actual_access:  read_only
        .address_space:  global
        .offset:         72
        .size:           8
        .value_kind:     global_buffer
      - .address_space:  global
        .offset:         80
        .size:           8
        .value_kind:     global_buffer
    .group_segment_fixed_size: 0
    .kernarg_segment_align: 8
    .kernarg_segment_size: 88
    .language:       OpenCL C
    .language_version:
      - 2
      - 0
    .max_flat_workgroup_size: 231
    .name:           fft_rtc_back_len1386_factors_2_7_3_11_3_wgs_231_tpt_231_halfLds_half_ip_CI_unitstride_sbrr_dirReg
    .private_segment_fixed_size: 0
    .sgpr_count:     23
    .sgpr_spill_count: 0
    .symbol:         fft_rtc_back_len1386_factors_2_7_3_11_3_wgs_231_tpt_231_halfLds_half_ip_CI_unitstride_sbrr_dirReg.kd
    .uniform_work_group_size: 1
    .uses_dynamic_stack: false
    .vgpr_count:     60
    .vgpr_spill_count: 0
    .wavefront_size: 32
    .workgroup_processor_mode: 1
amdhsa.target:   amdgcn-amd-amdhsa--gfx1030
amdhsa.version:
  - 1
  - 2
...

	.end_amdgpu_metadata
